;; amdgpu-corpus repo=zjin-lcf/HeCBench kind=compiled arch=gfx1030 opt=O3
	.amdgcn_target "amdgcn-amd-amdhsa--gfx1030"
	.amdhsa_code_object_version 6
	.text
	.protected	_Z24calNumEigenValueIntervalPjPKfS1_S1_j ; -- Begin function _Z24calNumEigenValueIntervalPjPKfS1_S1_j
	.globl	_Z24calNumEigenValueIntervalPjPKfS1_S1_j
	.p2align	8
	.type	_Z24calNumEigenValueIntervalPjPKfS1_S1_j,@function
_Z24calNumEigenValueIntervalPjPKfS1_S1_j: ; @_Z24calNumEigenValueIntervalPjPKfS1_S1_j
; %bb.0:
	s_clause 0x1
	s_load_dword s0, s[4:5], 0x34
	s_load_dwordx8 s[8:15], s[4:5], 0x0
	v_mov_b32_e32 v2, 0
	s_waitcnt lgkmcnt(0)
	s_and_b32 s0, s0, 0xffff
	v_mad_u64_u32 v[0:1], null, s6, s0, v[0:1]
	v_lshlrev_b32_e32 v1, 1, v0
	v_lshlrev_b64 v[1:2], 2, v[1:2]
	v_add_co_u32 v1, vcc_lo, s10, v1
	v_add_co_ci_u32_e64 v2, null, s11, v2, vcc_lo
	global_load_dwordx2 v[1:2], v[1:2], off
	s_load_dword s6, s[12:13], 0x0
	s_load_dword s4, s[4:5], 0x20
	s_waitcnt lgkmcnt(0)
	s_cmp_gt_u32 s4, 1
	s_cselect_b32 s5, -1, 0
	s_cmp_lt_u32 s4, 2
	s_waitcnt vmcnt(0)
	v_sub_f32_e32 v4, s6, v1
	v_cmp_gt_f32_e32 vcc_lo, 0, v4
	v_cndmask_b32_e64 v3, 0, 1, vcc_lo
	s_cbranch_scc1 .LBB0_3
; %bb.1:
	s_add_i32 s7, s4, -1
	s_add_u32 s0, s12, 4
	s_addc_u32 s1, s13, 0
	s_mov_b64 s[2:3], s[14:15]
	s_inst_prefetch 0x1
	.p2align	6
.LBB0_2:                                ; =>This Inner Loop Header: Depth=1
	s_load_dword s10, s[2:3], 0x0
	s_add_i32 s7, s7, -1
	s_add_u32 s2, s2, 4
	s_addc_u32 s3, s3, 0
	s_waitcnt lgkmcnt(0)
	v_mul_f32_e64 v5, s10, s10
	s_load_dword s10, s[0:1], 0x0
	s_add_u32 s0, s0, 4
	s_addc_u32 s1, s1, 0
	s_cmp_lg_u32 s7, 0
	v_div_scale_f32 v6, null, v4, v4, v5
	v_div_scale_f32 v9, vcc_lo, v5, v4, v5
	v_rcp_f32_e32 v7, v6
	v_fma_f32 v8, -v6, v7, 1.0
	v_fmac_f32_e32 v7, v8, v7
	v_mul_f32_e32 v8, v9, v7
	v_fma_f32 v10, -v6, v8, v9
	v_fmac_f32_e32 v8, v10, v7
	v_fma_f32 v6, -v6, v8, v9
	v_div_fmas_f32 v6, v6, v7, v8
	s_waitcnt lgkmcnt(0)
	v_sub_f32_e32 v7, s10, v1
	v_div_fixup_f32 v4, v6, v4, v5
	v_sub_f32_e32 v4, v7, v4
	v_cmp_gt_f32_e32 vcc_lo, 0, v4
	v_add_co_ci_u32_e64 v3, null, 0, v3, vcc_lo
	s_cbranch_scc1 .LBB0_2
.LBB0_3:
	s_inst_prefetch 0x2
	v_sub_f32_e32 v4, s6, v2
	v_cmp_gt_f32_e32 vcc_lo, 0, v4
	v_cndmask_b32_e64 v1, 0, 1, vcc_lo
	s_andn2_b32 vcc_lo, exec_lo, s5
	s_cbranch_vccnz .LBB0_6
; %bb.4:
	s_add_i32 s2, s4, -1
	s_add_u32 s0, s12, 4
	s_addc_u32 s1, s13, 0
	s_inst_prefetch 0x1
	.p2align	6
.LBB0_5:                                ; =>This Inner Loop Header: Depth=1
	s_load_dword s3, s[14:15], 0x0
	s_add_i32 s2, s2, -1
	s_add_u32 s14, s14, 4
	s_addc_u32 s15, s15, 0
	s_waitcnt lgkmcnt(0)
	v_mul_f32_e64 v5, s3, s3
	s_load_dword s3, s[0:1], 0x0
	s_add_u32 s0, s0, 4
	s_addc_u32 s1, s1, 0
	s_cmp_lg_u32 s2, 0
	v_div_scale_f32 v6, null, v4, v4, v5
	v_div_scale_f32 v9, vcc_lo, v5, v4, v5
	v_rcp_f32_e32 v7, v6
	v_fma_f32 v8, -v6, v7, 1.0
	v_fmac_f32_e32 v7, v8, v7
	v_mul_f32_e32 v8, v9, v7
	v_fma_f32 v10, -v6, v8, v9
	v_fmac_f32_e32 v8, v10, v7
	v_fma_f32 v6, -v6, v8, v9
	v_div_fmas_f32 v6, v6, v7, v8
	s_waitcnt lgkmcnt(0)
	v_sub_f32_e32 v7, s3, v2
	v_div_fixup_f32 v4, v6, v4, v5
	v_sub_f32_e32 v4, v7, v4
	v_cmp_gt_f32_e32 vcc_lo, 0, v4
	v_add_co_ci_u32_e64 v1, null, 0, v1, vcc_lo
	s_cbranch_scc1 .LBB0_5
.LBB0_6:
	s_inst_prefetch 0x2
	v_cvt_f32_u32_e32 v2, v3
	v_cvt_f32_u32_e32 v3, v1
	v_mov_b32_e32 v1, 0
	v_cvt_u32_f32_e32 v2, v2
	v_cvt_u32_f32_e32 v3, v3
	v_lshlrev_b64 v[0:1], 2, v[0:1]
	v_sub_nc_u32_e32 v2, v3, v2
	v_add_co_u32 v0, vcc_lo, s8, v0
	v_add_co_ci_u32_e64 v1, null, s9, v1, vcc_lo
	global_store_dword v[0:1], v2, off
	s_endpgm
	.section	.rodata,"a",@progbits
	.p2align	6, 0x0
	.amdhsa_kernel _Z24calNumEigenValueIntervalPjPKfS1_S1_j
		.amdhsa_group_segment_fixed_size 0
		.amdhsa_private_segment_fixed_size 0
		.amdhsa_kernarg_size 296
		.amdhsa_user_sgpr_count 6
		.amdhsa_user_sgpr_private_segment_buffer 1
		.amdhsa_user_sgpr_dispatch_ptr 0
		.amdhsa_user_sgpr_queue_ptr 0
		.amdhsa_user_sgpr_kernarg_segment_ptr 1
		.amdhsa_user_sgpr_dispatch_id 0
		.amdhsa_user_sgpr_flat_scratch_init 0
		.amdhsa_user_sgpr_private_segment_size 0
		.amdhsa_wavefront_size32 1
		.amdhsa_uses_dynamic_stack 0
		.amdhsa_system_sgpr_private_segment_wavefront_offset 0
		.amdhsa_system_sgpr_workgroup_id_x 1
		.amdhsa_system_sgpr_workgroup_id_y 0
		.amdhsa_system_sgpr_workgroup_id_z 0
		.amdhsa_system_sgpr_workgroup_info 0
		.amdhsa_system_vgpr_workitem_id 0
		.amdhsa_next_free_vgpr 11
		.amdhsa_next_free_sgpr 16
		.amdhsa_reserve_vcc 1
		.amdhsa_reserve_flat_scratch 0
		.amdhsa_float_round_mode_32 0
		.amdhsa_float_round_mode_16_64 0
		.amdhsa_float_denorm_mode_32 3
		.amdhsa_float_denorm_mode_16_64 3
		.amdhsa_dx10_clamp 1
		.amdhsa_ieee_mode 1
		.amdhsa_fp16_overflow 0
		.amdhsa_workgroup_processor_mode 1
		.amdhsa_memory_ordered 1
		.amdhsa_forward_progress 1
		.amdhsa_shared_vgpr_count 0
		.amdhsa_exception_fp_ieee_invalid_op 0
		.amdhsa_exception_fp_denorm_src 0
		.amdhsa_exception_fp_ieee_div_zero 0
		.amdhsa_exception_fp_ieee_overflow 0
		.amdhsa_exception_fp_ieee_underflow 0
		.amdhsa_exception_fp_ieee_inexact 0
		.amdhsa_exception_int_div_zero 0
	.end_amdhsa_kernel
	.text
.Lfunc_end0:
	.size	_Z24calNumEigenValueIntervalPjPKfS1_S1_j, .Lfunc_end0-_Z24calNumEigenValueIntervalPjPKfS1_S1_j
                                        ; -- End function
	.set _Z24calNumEigenValueIntervalPjPKfS1_S1_j.num_vgpr, 11
	.set _Z24calNumEigenValueIntervalPjPKfS1_S1_j.num_agpr, 0
	.set _Z24calNumEigenValueIntervalPjPKfS1_S1_j.numbered_sgpr, 16
	.set _Z24calNumEigenValueIntervalPjPKfS1_S1_j.num_named_barrier, 0
	.set _Z24calNumEigenValueIntervalPjPKfS1_S1_j.private_seg_size, 0
	.set _Z24calNumEigenValueIntervalPjPKfS1_S1_j.uses_vcc, 1
	.set _Z24calNumEigenValueIntervalPjPKfS1_S1_j.uses_flat_scratch, 0
	.set _Z24calNumEigenValueIntervalPjPKfS1_S1_j.has_dyn_sized_stack, 0
	.set _Z24calNumEigenValueIntervalPjPKfS1_S1_j.has_recursion, 0
	.set _Z24calNumEigenValueIntervalPjPKfS1_S1_j.has_indirect_call, 0
	.section	.AMDGPU.csdata,"",@progbits
; Kernel info:
; codeLenInByte = 664
; TotalNumSgprs: 18
; NumVgprs: 11
; ScratchSize: 0
; MemoryBound: 0
; FloatMode: 240
; IeeeMode: 1
; LDSByteSize: 0 bytes/workgroup (compile time only)
; SGPRBlocks: 0
; VGPRBlocks: 1
; NumSGPRsForWavesPerEU: 18
; NumVGPRsForWavesPerEU: 11
; Occupancy: 16
; WaveLimiterHint : 0
; COMPUTE_PGM_RSRC2:SCRATCH_EN: 0
; COMPUTE_PGM_RSRC2:USER_SGPR: 6
; COMPUTE_PGM_RSRC2:TRAP_HANDLER: 0
; COMPUTE_PGM_RSRC2:TGID_X_EN: 1
; COMPUTE_PGM_RSRC2:TGID_Y_EN: 0
; COMPUTE_PGM_RSRC2:TGID_Z_EN: 0
; COMPUTE_PGM_RSRC2:TIDIG_COMP_CNT: 0
	.text
	.protected	_Z25recalculateEigenIntervalsPfPKfPKjS1_S1_jf ; -- Begin function _Z25recalculateEigenIntervalsPfPKfPKjS1_S1_jf
	.globl	_Z25recalculateEigenIntervalsPfPKfPKjS1_S1_jf
	.p2align	8
	.type	_Z25recalculateEigenIntervalsPfPKfPKjS1_S1_jf,@function
_Z25recalculateEigenIntervalsPfPKfPKjS1_S1_jf: ; @_Z25recalculateEigenIntervalsPfPKfPKjS1_S1_jf
; %bb.0:
	s_clause 0x1
	s_load_dwordx8 s[8:15], s[4:5], 0x0
	s_load_dword s2, s[4:5], 0x3c
	s_waitcnt lgkmcnt(0)
	s_load_dword s7, s[12:13], 0x0
	s_load_dwordx2 s[0:1], s[4:5], 0x20
	s_and_b32 s2, s2, 0xffff
	v_mad_u64_u32 v[2:3], null, s6, s2, v[0:1]
	v_mov_b32_e32 v3, 0
	s_mov_b32 s6, exec_lo
	v_mov_b32_e32 v6, v2
	s_waitcnt lgkmcnt(0)
	v_mov_b32_e32 v7, s7
	v_cmpx_le_u32_e64 s7, v2
	s_cbranch_execz .LBB1_4
; %bb.1:
	v_mov_b32_e32 v6, v2
	s_mov_b32 s3, 0
	s_mov_b32 s16, 0
	;; [unrolled: 1-line block ×3, first 2 shown]
.LBB1_2:                                ; =>This Inner Loop Header: Depth=1
	s_add_i32 s2, s2, 1
	v_subrev_nc_u32_e32 v6, s7, v6
	s_lshl_b64 s[18:19], s[2:3], 2
	v_mov_b32_e32 v0, s2
	s_add_u32 s18, s12, s18
	s_addc_u32 s19, s13, s19
	s_load_dword s7, s[18:19], 0x0
	s_waitcnt lgkmcnt(0)
	v_cmp_gt_u32_e32 vcc_lo, s7, v6
	v_mov_b32_e32 v7, s7
	s_or_b32 s16, vcc_lo, s16
	s_andn2_b32 exec_lo, exec_lo, s16
	s_cbranch_execnz .LBB1_2
; %bb.3:
	s_or_b32 exec_lo, exec_lo, s16
	v_lshlrev_b32_e32 v3, 1, v0
.LBB1_4:
	s_or_b32 exec_lo, exec_lo, s6
	v_mov_b32_e32 v4, 0
	v_lshlrev_b32_e32 v2, 1, v2
	s_mov_b32 s2, exec_lo
	v_lshlrev_b64 v[0:1], 2, v[3:4]
	v_add_co_u32 v0, vcc_lo, s10, v0
	v_add_co_ci_u32_e64 v1, null, s11, v1, vcc_lo
	global_load_dwordx2 v[0:1], v[0:1], off
	s_waitcnt vmcnt(0)
	v_sub_f32_e32 v5, v1, v0
	v_cmpx_ne_u32_e32 1, v7
	s_xor_b32 s2, exec_lo, s2
	s_cbranch_execz .LBB1_6
; %bb.5:
	v_cvt_f32_u32_e32 v1, v7
	v_div_scale_f32 v3, null, v1, v1, v5
	v_div_scale_f32 v9, vcc_lo, v5, v1, v5
	v_rcp_f32_e32 v7, v3
	v_fma_f32 v8, -v3, v7, 1.0
	v_fmac_f32_e32 v7, v8, v7
	v_mul_f32_e32 v8, v9, v7
	v_fma_f32 v10, -v3, v8, v9
	v_fmac_f32_e32 v8, v10, v7
	v_fma_f32 v3, -v3, v8, v9
	v_div_fmas_f32 v7, v3, v7, v8
	v_mov_b32_e32 v3, v4
	v_cvt_f32_u32_e32 v4, v6
	v_div_fixup_f32 v5, v7, v1, v5
	v_lshlrev_b64 v[1:2], 2, v[2:3]
	v_fmac_f32_e32 v0, v5, v4
	v_add_co_u32 v3, vcc_lo, s8, v1
	v_add_co_ci_u32_e64 v4, null, s9, v2, vcc_lo
	v_add_f32_e32 v1, v5, v0
                                        ; implicit-def: $vgpr2
                                        ; implicit-def: $vgpr5
	global_store_dwordx2 v[3:4], v[0:1], off
                                        ; implicit-def: $vgpr0_vgpr1
.LBB1_6:
	s_andn2_saveexec_b32 s2, s2
	s_cbranch_execz .LBB1_21
; %bb.7:
	s_load_dword s10, s[14:15], 0x0
	s_load_dwordx2 s[2:3], s[4:5], 0x28
	v_add_f32_e32 v4, v1, v0
	s_waitcnt lgkmcnt(0)
	v_fma_f32 v3, v4, -0.5, s10
	v_mul_f32_e32 v4, 0.5, v4
	s_cmp_gt_u32 s2, 1
	s_cselect_b32 s11, -1, 0
	v_cmp_gt_f32_e32 vcc_lo, 0, v3
	s_cmp_lt_u32 s2, 2
	v_cndmask_b32_e64 v6, 0, 1, vcc_lo
	s_cbranch_scc1 .LBB1_10
; %bb.8:
	s_add_i32 s12, s2, -1
	s_add_u32 s4, s14, 4
	s_addc_u32 s5, s15, 0
	s_mov_b64 s[6:7], s[0:1]
	s_inst_prefetch 0x1
	.p2align	6
.LBB1_9:                                ; =>This Inner Loop Header: Depth=1
	s_load_dword s13, s[6:7], 0x0
	s_add_i32 s12, s12, -1
	s_add_u32 s6, s6, 4
	s_addc_u32 s7, s7, 0
	s_waitcnt lgkmcnt(0)
	v_mul_f32_e64 v7, s13, s13
	s_load_dword s13, s[4:5], 0x0
	s_add_u32 s4, s4, 4
	s_addc_u32 s5, s5, 0
	s_cmp_lg_u32 s12, 0
	v_div_scale_f32 v8, null, v3, v3, v7
	v_div_scale_f32 v11, vcc_lo, v7, v3, v7
	v_rcp_f32_e32 v9, v8
	v_fma_f32 v10, -v8, v9, 1.0
	v_fmac_f32_e32 v9, v10, v9
	v_mul_f32_e32 v10, v11, v9
	v_fma_f32 v12, -v8, v10, v11
	v_fmac_f32_e32 v10, v12, v9
	v_fma_f32 v8, -v8, v10, v11
	v_div_fmas_f32 v8, v8, v9, v10
	s_waitcnt lgkmcnt(0)
	v_sub_f32_e32 v9, s13, v4
	v_div_fixup_f32 v3, v8, v3, v7
	v_sub_f32_e32 v3, v9, v3
	v_cmp_gt_f32_e32 vcc_lo, 0, v3
	v_add_co_ci_u32_e64 v6, null, 0, v6, vcc_lo
	s_cbranch_scc1 .LBB1_9
.LBB1_10:
	s_inst_prefetch 0x2
	v_sub_f32_e32 v3, s10, v0
	v_cmp_gt_f32_e32 vcc_lo, 0, v3
	v_cndmask_b32_e64 v7, 0, 1, vcc_lo
	s_andn2_b32 vcc_lo, exec_lo, s11
	s_cbranch_vccnz .LBB1_13
; %bb.11:
	s_add_i32 s2, s2, -1
	s_add_u32 s4, s14, 4
	s_addc_u32 s5, s15, 0
	s_inst_prefetch 0x1
	.p2align	6
.LBB1_12:                               ; =>This Inner Loop Header: Depth=1
	s_load_dword s6, s[0:1], 0x0
	s_add_i32 s2, s2, -1
	s_add_u32 s0, s0, 4
	s_addc_u32 s1, s1, 0
	s_waitcnt lgkmcnt(0)
	v_mul_f32_e64 v8, s6, s6
	s_load_dword s6, s[4:5], 0x0
	s_add_u32 s4, s4, 4
	s_addc_u32 s5, s5, 0
	s_cmp_lg_u32 s2, 0
	v_div_scale_f32 v9, null, v3, v3, v8
	v_div_scale_f32 v12, vcc_lo, v8, v3, v8
	v_rcp_f32_e32 v10, v9
	v_fma_f32 v11, -v9, v10, 1.0
	v_fmac_f32_e32 v10, v11, v10
	v_mul_f32_e32 v11, v12, v10
	v_fma_f32 v13, -v9, v11, v12
	v_fmac_f32_e32 v11, v13, v10
	v_fma_f32 v9, -v9, v11, v12
	v_div_fmas_f32 v9, v9, v10, v11
	s_waitcnt lgkmcnt(0)
	v_sub_f32_e32 v10, s6, v0
	v_div_fixup_f32 v3, v9, v3, v8
	v_sub_f32_e32 v3, v10, v3
	v_cmp_gt_f32_e32 vcc_lo, 0, v3
	v_add_co_ci_u32_e64 v7, null, 0, v7, vcc_lo
	s_cbranch_scc1 .LBB1_12
.LBB1_13:
	s_inst_prefetch 0x2
	s_mov_b32 s0, exec_lo
	v_cmpx_ngt_f32_e32 s3, v5
	s_xor_b32 s1, exec_lo, s0
	s_cbranch_execz .LBB1_19
; %bb.14:
	v_mov_b32_e32 v3, 0
	v_cvt_f32_u32_e32 v5, v6
	v_cvt_f32_u32_e32 v6, v7
	v_lshlrev_b64 v[2:3], 2, v[2:3]
	v_add_co_u32 v2, s0, s8, v2
	v_add_co_ci_u32_e64 v3, null, s9, v3, s0
	s_mov_b32 s0, exec_lo
	v_cmpx_neq_f32_e32 v5, v6
	s_xor_b32 s0, exec_lo, s0
	s_cbranch_execz .LBB1_16
; %bb.15:
	v_mov_b32_e32 v1, v4
                                        ; implicit-def: $vgpr4
	global_store_dwordx2 v[2:3], v[0:1], off
                                        ; implicit-def: $vgpr0_vgpr1
                                        ; implicit-def: $vgpr2_vgpr3
.LBB1_16:
	s_andn2_saveexec_b32 s0, s0
	s_cbranch_execz .LBB1_18
; %bb.17:
	v_mov_b32_e32 v5, v1
	global_store_dwordx2 v[2:3], v[4:5], off
.LBB1_18:
	s_or_b32 exec_lo, exec_lo, s0
                                        ; implicit-def: $vgpr2
                                        ; implicit-def: $vgpr0_vgpr1
.LBB1_19:
	s_andn2_saveexec_b32 s0, s1
	s_cbranch_execz .LBB1_21
; %bb.20:
	v_mov_b32_e32 v3, 0
	v_lshlrev_b64 v[2:3], 2, v[2:3]
	v_add_co_u32 v2, vcc_lo, s8, v2
	v_add_co_ci_u32_e64 v3, null, s9, v3, vcc_lo
	global_store_dwordx2 v[2:3], v[0:1], off
.LBB1_21:
	s_endpgm
	.section	.rodata,"a",@progbits
	.p2align	6, 0x0
	.amdhsa_kernel _Z25recalculateEigenIntervalsPfPKfPKjS1_S1_jf
		.amdhsa_group_segment_fixed_size 0
		.amdhsa_private_segment_fixed_size 0
		.amdhsa_kernarg_size 304
		.amdhsa_user_sgpr_count 6
		.amdhsa_user_sgpr_private_segment_buffer 1
		.amdhsa_user_sgpr_dispatch_ptr 0
		.amdhsa_user_sgpr_queue_ptr 0
		.amdhsa_user_sgpr_kernarg_segment_ptr 1
		.amdhsa_user_sgpr_dispatch_id 0
		.amdhsa_user_sgpr_flat_scratch_init 0
		.amdhsa_user_sgpr_private_segment_size 0
		.amdhsa_wavefront_size32 1
		.amdhsa_uses_dynamic_stack 0
		.amdhsa_system_sgpr_private_segment_wavefront_offset 0
		.amdhsa_system_sgpr_workgroup_id_x 1
		.amdhsa_system_sgpr_workgroup_id_y 0
		.amdhsa_system_sgpr_workgroup_id_z 0
		.amdhsa_system_sgpr_workgroup_info 0
		.amdhsa_system_vgpr_workitem_id 0
		.amdhsa_next_free_vgpr 14
		.amdhsa_next_free_sgpr 20
		.amdhsa_reserve_vcc 1
		.amdhsa_reserve_flat_scratch 0
		.amdhsa_float_round_mode_32 0
		.amdhsa_float_round_mode_16_64 0
		.amdhsa_float_denorm_mode_32 3
		.amdhsa_float_denorm_mode_16_64 3
		.amdhsa_dx10_clamp 1
		.amdhsa_ieee_mode 1
		.amdhsa_fp16_overflow 0
		.amdhsa_workgroup_processor_mode 1
		.amdhsa_memory_ordered 1
		.amdhsa_forward_progress 1
		.amdhsa_shared_vgpr_count 0
		.amdhsa_exception_fp_ieee_invalid_op 0
		.amdhsa_exception_fp_denorm_src 0
		.amdhsa_exception_fp_ieee_div_zero 0
		.amdhsa_exception_fp_ieee_overflow 0
		.amdhsa_exception_fp_ieee_underflow 0
		.amdhsa_exception_fp_ieee_inexact 0
		.amdhsa_exception_int_div_zero 0
	.end_amdhsa_kernel
	.text
.Lfunc_end1:
	.size	_Z25recalculateEigenIntervalsPfPKfPKjS1_S1_jf, .Lfunc_end1-_Z25recalculateEigenIntervalsPfPKfPKjS1_S1_jf
                                        ; -- End function
	.set _Z25recalculateEigenIntervalsPfPKfPKjS1_S1_jf.num_vgpr, 14
	.set _Z25recalculateEigenIntervalsPfPKfPKjS1_S1_jf.num_agpr, 0
	.set _Z25recalculateEigenIntervalsPfPKfPKjS1_S1_jf.numbered_sgpr, 20
	.set _Z25recalculateEigenIntervalsPfPKfPKjS1_S1_jf.num_named_barrier, 0
	.set _Z25recalculateEigenIntervalsPfPKfPKjS1_S1_jf.private_seg_size, 0
	.set _Z25recalculateEigenIntervalsPfPKfPKjS1_S1_jf.uses_vcc, 1
	.set _Z25recalculateEigenIntervalsPfPKfPKjS1_S1_jf.uses_flat_scratch, 0
	.set _Z25recalculateEigenIntervalsPfPKfPKjS1_S1_jf.has_dyn_sized_stack, 0
	.set _Z25recalculateEigenIntervalsPfPKfPKjS1_S1_jf.has_recursion, 0
	.set _Z25recalculateEigenIntervalsPfPKfPKjS1_S1_jf.has_indirect_call, 0
	.section	.AMDGPU.csdata,"",@progbits
; Kernel info:
; codeLenInByte = 1076
; TotalNumSgprs: 22
; NumVgprs: 14
; ScratchSize: 0
; MemoryBound: 0
; FloatMode: 240
; IeeeMode: 1
; LDSByteSize: 0 bytes/workgroup (compile time only)
; SGPRBlocks: 0
; VGPRBlocks: 1
; NumSGPRsForWavesPerEU: 22
; NumVGPRsForWavesPerEU: 14
; Occupancy: 16
; WaveLimiterHint : 0
; COMPUTE_PGM_RSRC2:SCRATCH_EN: 0
; COMPUTE_PGM_RSRC2:USER_SGPR: 6
; COMPUTE_PGM_RSRC2:TRAP_HANDLER: 0
; COMPUTE_PGM_RSRC2:TGID_X_EN: 1
; COMPUTE_PGM_RSRC2:TGID_Y_EN: 0
; COMPUTE_PGM_RSRC2:TGID_Z_EN: 0
; COMPUTE_PGM_RSRC2:TIDIG_COMP_CNT: 0
	.text
	.p2alignl 6, 3214868480
	.fill 48, 4, 3214868480
	.section	.AMDGPU.gpr_maximums,"",@progbits
	.set amdgpu.max_num_vgpr, 0
	.set amdgpu.max_num_agpr, 0
	.set amdgpu.max_num_sgpr, 0
	.text
	.type	__hip_cuid_a071f3c6549e4ee2,@object ; @__hip_cuid_a071f3c6549e4ee2
	.section	.bss,"aw",@nobits
	.globl	__hip_cuid_a071f3c6549e4ee2
__hip_cuid_a071f3c6549e4ee2:
	.byte	0                               ; 0x0
	.size	__hip_cuid_a071f3c6549e4ee2, 1

	.ident	"AMD clang version 22.0.0git (https://github.com/RadeonOpenCompute/llvm-project roc-7.2.4 26084 f58b06dce1f9c15707c5f808fd002e18c2accf7e)"
	.section	".note.GNU-stack","",@progbits
	.addrsig
	.addrsig_sym __hip_cuid_a071f3c6549e4ee2
	.amdgpu_metadata
---
amdhsa.kernels:
  - .args:
      - .actual_access:  write_only
        .address_space:  global
        .offset:         0
        .size:           8
        .value_kind:     global_buffer
      - .actual_access:  read_only
        .address_space:  global
        .offset:         8
        .size:           8
        .value_kind:     global_buffer
      - .actual_access:  read_only
        .address_space:  global
        .offset:         16
        .size:           8
        .value_kind:     global_buffer
      - .actual_access:  read_only
        .address_space:  global
        .offset:         24
        .size:           8
        .value_kind:     global_buffer
      - .offset:         32
        .size:           4
        .value_kind:     by_value
      - .offset:         40
        .size:           4
        .value_kind:     hidden_block_count_x
      - .offset:         44
        .size:           4
        .value_kind:     hidden_block_count_y
      - .offset:         48
        .size:           4
        .value_kind:     hidden_block_count_z
      - .offset:         52
        .size:           2
        .value_kind:     hidden_group_size_x
      - .offset:         54
        .size:           2
        .value_kind:     hidden_group_size_y
      - .offset:         56
        .size:           2
        .value_kind:     hidden_group_size_z
      - .offset:         58
        .size:           2
        .value_kind:     hidden_remainder_x
      - .offset:         60
        .size:           2
        .value_kind:     hidden_remainder_y
      - .offset:         62
        .size:           2
        .value_kind:     hidden_remainder_z
      - .offset:         80
        .size:           8
        .value_kind:     hidden_global_offset_x
      - .offset:         88
        .size:           8
        .value_kind:     hidden_global_offset_y
      - .offset:         96
        .size:           8
        .value_kind:     hidden_global_offset_z
      - .offset:         104
        .size:           2
        .value_kind:     hidden_grid_dims
    .group_segment_fixed_size: 0
    .kernarg_segment_align: 8
    .kernarg_segment_size: 296
    .language:       OpenCL C
    .language_version:
      - 2
      - 0
    .max_flat_workgroup_size: 1024
    .name:           _Z24calNumEigenValueIntervalPjPKfS1_S1_j
    .private_segment_fixed_size: 0
    .sgpr_count:     18
    .sgpr_spill_count: 0
    .symbol:         _Z24calNumEigenValueIntervalPjPKfS1_S1_j.kd
    .uniform_work_group_size: 1
    .uses_dynamic_stack: false
    .vgpr_count:     11
    .vgpr_spill_count: 0
    .wavefront_size: 32
    .workgroup_processor_mode: 1
  - .args:
      - .actual_access:  write_only
        .address_space:  global
        .offset:         0
        .size:           8
        .value_kind:     global_buffer
      - .actual_access:  read_only
        .address_space:  global
        .offset:         8
        .size:           8
        .value_kind:     global_buffer
      - .actual_access:  read_only
        .address_space:  global
        .offset:         16
        .size:           8
        .value_kind:     global_buffer
      - .actual_access:  read_only
        .address_space:  global
        .offset:         24
        .size:           8
        .value_kind:     global_buffer
      - .actual_access:  read_only
        .address_space:  global
        .offset:         32
        .size:           8
        .value_kind:     global_buffer
      - .offset:         40
        .size:           4
        .value_kind:     by_value
      - .offset:         44
        .size:           4
        .value_kind:     by_value
      - .offset:         48
        .size:           4
        .value_kind:     hidden_block_count_x
      - .offset:         52
        .size:           4
        .value_kind:     hidden_block_count_y
      - .offset:         56
        .size:           4
        .value_kind:     hidden_block_count_z
      - .offset:         60
        .size:           2
        .value_kind:     hidden_group_size_x
      - .offset:         62
        .size:           2
        .value_kind:     hidden_group_size_y
      - .offset:         64
        .size:           2
        .value_kind:     hidden_group_size_z
      - .offset:         66
        .size:           2
        .value_kind:     hidden_remainder_x
      - .offset:         68
        .size:           2
        .value_kind:     hidden_remainder_y
      - .offset:         70
        .size:           2
        .value_kind:     hidden_remainder_z
      - .offset:         88
        .size:           8
        .value_kind:     hidden_global_offset_x
      - .offset:         96
        .size:           8
        .value_kind:     hidden_global_offset_y
      - .offset:         104
        .size:           8
        .value_kind:     hidden_global_offset_z
      - .offset:         112
        .size:           2
        .value_kind:     hidden_grid_dims
    .group_segment_fixed_size: 0
    .kernarg_segment_align: 8
    .kernarg_segment_size: 304
    .language:       OpenCL C
    .language_version:
      - 2
      - 0
    .max_flat_workgroup_size: 1024
    .name:           _Z25recalculateEigenIntervalsPfPKfPKjS1_S1_jf
    .private_segment_fixed_size: 0
    .sgpr_count:     22
    .sgpr_spill_count: 0
    .symbol:         _Z25recalculateEigenIntervalsPfPKfPKjS1_S1_jf.kd
    .uniform_work_group_size: 1
    .uses_dynamic_stack: false
    .vgpr_count:     14
    .vgpr_spill_count: 0
    .wavefront_size: 32
    .workgroup_processor_mode: 1
amdhsa.target:   amdgcn-amd-amdhsa--gfx1030
amdhsa.version:
  - 1
  - 2
...

	.end_amdgpu_metadata
